;; amdgpu-corpus repo=ROCm/rocFFT kind=compiled arch=gfx1030 opt=O3
	.text
	.amdgcn_target "amdgcn-amd-amdhsa--gfx1030"
	.amdhsa_code_object_version 6
	.protected	fft_rtc_back_len1500_factors_5_10_10_3_wgs_150_tpt_150_halfLds_dp_op_CI_CI_unitstride_sbrr_dirReg ; -- Begin function fft_rtc_back_len1500_factors_5_10_10_3_wgs_150_tpt_150_halfLds_dp_op_CI_CI_unitstride_sbrr_dirReg
	.globl	fft_rtc_back_len1500_factors_5_10_10_3_wgs_150_tpt_150_halfLds_dp_op_CI_CI_unitstride_sbrr_dirReg
	.p2align	8
	.type	fft_rtc_back_len1500_factors_5_10_10_3_wgs_150_tpt_150_halfLds_dp_op_CI_CI_unitstride_sbrr_dirReg,@function
fft_rtc_back_len1500_factors_5_10_10_3_wgs_150_tpt_150_halfLds_dp_op_CI_CI_unitstride_sbrr_dirReg: ; @fft_rtc_back_len1500_factors_5_10_10_3_wgs_150_tpt_150_halfLds_dp_op_CI_CI_unitstride_sbrr_dirReg
; %bb.0:
	s_clause 0x2
	s_load_dwordx4 s[8:11], s[4:5], 0x0
	s_load_dwordx4 s[12:15], s[4:5], 0x58
	;; [unrolled: 1-line block ×3, first 2 shown]
	v_mul_u32_u24_e32 v2, 0x1b5, v0
	v_mov_b32_e32 v1, 0
	v_mov_b32_e32 v4, 0
	;; [unrolled: 1-line block ×3, first 2 shown]
	v_add_nc_u32_sdwa v6, s6, v2 dst_sel:DWORD dst_unused:UNUSED_PAD src0_sel:DWORD src1_sel:WORD_1
	v_mov_b32_e32 v7, v1
	s_waitcnt lgkmcnt(0)
	v_cmp_lt_u64_e64 s0, s[10:11], 2
	s_and_b32 vcc_lo, exec_lo, s0
	s_cbranch_vccnz .LBB0_8
; %bb.1:
	s_load_dwordx2 s[0:1], s[4:5], 0x10
	v_mov_b32_e32 v4, 0
	v_mov_b32_e32 v5, 0
	s_add_u32 s2, s18, 8
	s_addc_u32 s3, s19, 0
	s_add_u32 s6, s16, 8
	s_addc_u32 s7, s17, 0
	v_mov_b32_e32 v41, v5
	v_mov_b32_e32 v40, v4
	s_mov_b64 s[22:23], 1
	s_waitcnt lgkmcnt(0)
	s_add_u32 s20, s0, 8
	s_addc_u32 s21, s1, 0
.LBB0_2:                                ; =>This Inner Loop Header: Depth=1
	s_load_dwordx2 s[24:25], s[20:21], 0x0
                                        ; implicit-def: $vgpr42_vgpr43
	s_mov_b32 s0, exec_lo
	s_waitcnt lgkmcnt(0)
	v_or_b32_e32 v2, s25, v7
	v_cmpx_ne_u64_e32 0, v[1:2]
	s_xor_b32 s1, exec_lo, s0
	s_cbranch_execz .LBB0_4
; %bb.3:                                ;   in Loop: Header=BB0_2 Depth=1
	v_cvt_f32_u32_e32 v2, s24
	v_cvt_f32_u32_e32 v3, s25
	s_sub_u32 s0, 0, s24
	s_subb_u32 s26, 0, s25
	v_fmac_f32_e32 v2, 0x4f800000, v3
	v_rcp_f32_e32 v2, v2
	v_mul_f32_e32 v2, 0x5f7ffffc, v2
	v_mul_f32_e32 v3, 0x2f800000, v2
	v_trunc_f32_e32 v3, v3
	v_fmac_f32_e32 v2, 0xcf800000, v3
	v_cvt_u32_f32_e32 v3, v3
	v_cvt_u32_f32_e32 v2, v2
	v_mul_lo_u32 v8, s0, v3
	v_mul_hi_u32 v9, s0, v2
	v_mul_lo_u32 v10, s26, v2
	v_add_nc_u32_e32 v8, v9, v8
	v_mul_lo_u32 v9, s0, v2
	v_add_nc_u32_e32 v8, v8, v10
	v_mul_hi_u32 v10, v2, v9
	v_mul_lo_u32 v11, v2, v8
	v_mul_hi_u32 v12, v2, v8
	v_mul_hi_u32 v13, v3, v9
	v_mul_lo_u32 v9, v3, v9
	v_mul_hi_u32 v14, v3, v8
	v_mul_lo_u32 v8, v3, v8
	v_add_co_u32 v10, vcc_lo, v10, v11
	v_add_co_ci_u32_e32 v11, vcc_lo, 0, v12, vcc_lo
	v_add_co_u32 v9, vcc_lo, v10, v9
	v_add_co_ci_u32_e32 v9, vcc_lo, v11, v13, vcc_lo
	v_add_co_ci_u32_e32 v10, vcc_lo, 0, v14, vcc_lo
	v_add_co_u32 v8, vcc_lo, v9, v8
	v_add_co_ci_u32_e32 v9, vcc_lo, 0, v10, vcc_lo
	v_add_co_u32 v2, vcc_lo, v2, v8
	v_add_co_ci_u32_e32 v3, vcc_lo, v3, v9, vcc_lo
	v_mul_hi_u32 v8, s0, v2
	v_mul_lo_u32 v10, s26, v2
	v_mul_lo_u32 v9, s0, v3
	v_add_nc_u32_e32 v8, v8, v9
	v_mul_lo_u32 v9, s0, v2
	v_add_nc_u32_e32 v8, v8, v10
	v_mul_hi_u32 v10, v2, v9
	v_mul_lo_u32 v11, v2, v8
	v_mul_hi_u32 v12, v2, v8
	v_mul_hi_u32 v13, v3, v9
	v_mul_lo_u32 v9, v3, v9
	v_mul_hi_u32 v14, v3, v8
	v_mul_lo_u32 v8, v3, v8
	v_add_co_u32 v10, vcc_lo, v10, v11
	v_add_co_ci_u32_e32 v11, vcc_lo, 0, v12, vcc_lo
	v_add_co_u32 v9, vcc_lo, v10, v9
	v_add_co_ci_u32_e32 v9, vcc_lo, v11, v13, vcc_lo
	v_add_co_ci_u32_e32 v10, vcc_lo, 0, v14, vcc_lo
	v_add_co_u32 v8, vcc_lo, v9, v8
	v_add_co_ci_u32_e32 v9, vcc_lo, 0, v10, vcc_lo
	v_add_co_u32 v8, vcc_lo, v2, v8
	v_add_co_ci_u32_e32 v10, vcc_lo, v3, v9, vcc_lo
	v_mul_hi_u32 v12, v6, v8
	v_mad_u64_u32 v[8:9], null, v7, v8, 0
	v_mad_u64_u32 v[2:3], null, v6, v10, 0
	;; [unrolled: 1-line block ×3, first 2 shown]
	v_add_co_u32 v2, vcc_lo, v12, v2
	v_add_co_ci_u32_e32 v3, vcc_lo, 0, v3, vcc_lo
	v_add_co_u32 v2, vcc_lo, v2, v8
	v_add_co_ci_u32_e32 v2, vcc_lo, v3, v9, vcc_lo
	v_add_co_ci_u32_e32 v3, vcc_lo, 0, v11, vcc_lo
	v_add_co_u32 v8, vcc_lo, v2, v10
	v_add_co_ci_u32_e32 v9, vcc_lo, 0, v3, vcc_lo
	v_mul_lo_u32 v10, s25, v8
	v_mad_u64_u32 v[2:3], null, s24, v8, 0
	v_mul_lo_u32 v11, s24, v9
	v_sub_co_u32 v2, vcc_lo, v6, v2
	v_add3_u32 v3, v3, v11, v10
	v_sub_nc_u32_e32 v10, v7, v3
	v_subrev_co_ci_u32_e64 v10, s0, s25, v10, vcc_lo
	v_add_co_u32 v11, s0, v8, 2
	v_add_co_ci_u32_e64 v12, s0, 0, v9, s0
	v_sub_co_u32 v13, s0, v2, s24
	v_sub_co_ci_u32_e32 v3, vcc_lo, v7, v3, vcc_lo
	v_subrev_co_ci_u32_e64 v10, s0, 0, v10, s0
	v_cmp_le_u32_e32 vcc_lo, s24, v13
	v_cmp_eq_u32_e64 s0, s25, v3
	v_cndmask_b32_e64 v13, 0, -1, vcc_lo
	v_cmp_le_u32_e32 vcc_lo, s25, v10
	v_cndmask_b32_e64 v14, 0, -1, vcc_lo
	v_cmp_le_u32_e32 vcc_lo, s24, v2
	;; [unrolled: 2-line block ×3, first 2 shown]
	v_cndmask_b32_e64 v15, 0, -1, vcc_lo
	v_cmp_eq_u32_e32 vcc_lo, s25, v10
	v_cndmask_b32_e64 v2, v15, v2, s0
	v_cndmask_b32_e32 v10, v14, v13, vcc_lo
	v_add_co_u32 v13, vcc_lo, v8, 1
	v_add_co_ci_u32_e32 v14, vcc_lo, 0, v9, vcc_lo
	v_cmp_ne_u32_e32 vcc_lo, 0, v10
	v_cndmask_b32_e32 v3, v14, v12, vcc_lo
	v_cndmask_b32_e32 v10, v13, v11, vcc_lo
	v_cmp_ne_u32_e32 vcc_lo, 0, v2
	v_cndmask_b32_e32 v43, v9, v3, vcc_lo
	v_cndmask_b32_e32 v42, v8, v10, vcc_lo
.LBB0_4:                                ;   in Loop: Header=BB0_2 Depth=1
	s_andn2_saveexec_b32 s0, s1
	s_cbranch_execz .LBB0_6
; %bb.5:                                ;   in Loop: Header=BB0_2 Depth=1
	v_cvt_f32_u32_e32 v2, s24
	s_sub_i32 s1, 0, s24
	v_mov_b32_e32 v43, v1
	v_rcp_iflag_f32_e32 v2, v2
	v_mul_f32_e32 v2, 0x4f7ffffe, v2
	v_cvt_u32_f32_e32 v2, v2
	v_mul_lo_u32 v3, s1, v2
	v_mul_hi_u32 v3, v2, v3
	v_add_nc_u32_e32 v2, v2, v3
	v_mul_hi_u32 v2, v6, v2
	v_mul_lo_u32 v3, v2, s24
	v_add_nc_u32_e32 v8, 1, v2
	v_sub_nc_u32_e32 v3, v6, v3
	v_subrev_nc_u32_e32 v9, s24, v3
	v_cmp_le_u32_e32 vcc_lo, s24, v3
	v_cndmask_b32_e32 v3, v3, v9, vcc_lo
	v_cndmask_b32_e32 v2, v2, v8, vcc_lo
	v_cmp_le_u32_e32 vcc_lo, s24, v3
	v_add_nc_u32_e32 v8, 1, v2
	v_cndmask_b32_e32 v42, v2, v8, vcc_lo
.LBB0_6:                                ;   in Loop: Header=BB0_2 Depth=1
	s_or_b32 exec_lo, exec_lo, s0
	v_mul_lo_u32 v8, v43, s24
	v_mul_lo_u32 v9, v42, s25
	s_load_dwordx2 s[0:1], s[6:7], 0x0
	v_mad_u64_u32 v[2:3], null, v42, s24, 0
	s_load_dwordx2 s[24:25], s[2:3], 0x0
	s_add_u32 s22, s22, 1
	s_addc_u32 s23, s23, 0
	s_add_u32 s2, s2, 8
	s_addc_u32 s3, s3, 0
	s_add_u32 s6, s6, 8
	v_add3_u32 v3, v3, v9, v8
	v_sub_co_u32 v2, vcc_lo, v6, v2
	s_addc_u32 s7, s7, 0
	s_add_u32 s20, s20, 8
	v_sub_co_ci_u32_e32 v3, vcc_lo, v7, v3, vcc_lo
	s_addc_u32 s21, s21, 0
	s_waitcnt lgkmcnt(0)
	v_mul_lo_u32 v6, s0, v3
	v_mul_lo_u32 v7, s1, v2
	v_mad_u64_u32 v[4:5], null, s0, v2, v[4:5]
	v_mul_lo_u32 v3, s24, v3
	v_mul_lo_u32 v8, s25, v2
	v_mad_u64_u32 v[40:41], null, s24, v2, v[40:41]
	v_cmp_ge_u64_e64 s0, s[22:23], s[10:11]
	v_add3_u32 v5, v7, v5, v6
	v_add3_u32 v41, v8, v41, v3
	s_and_b32 vcc_lo, exec_lo, s0
	s_cbranch_vccnz .LBB0_9
; %bb.7:                                ;   in Loop: Header=BB0_2 Depth=1
	v_mov_b32_e32 v6, v42
	v_mov_b32_e32 v7, v43
	s_branch .LBB0_2
.LBB0_8:
	v_mov_b32_e32 v41, v5
	v_mov_b32_e32 v43, v7
	;; [unrolled: 1-line block ×4, first 2 shown]
.LBB0_9:
	s_load_dwordx2 s[0:1], s[4:5], 0x28
	v_mul_hi_u32 v1, 0x1b4e81c, v0
	s_lshl_b64 s[4:5], s[10:11], 3
                                        ; implicit-def: $vgpr72
	s_add_u32 s2, s18, s4
	s_addc_u32 s3, s19, s5
	s_waitcnt lgkmcnt(0)
	v_cmp_gt_u64_e32 vcc_lo, s[0:1], v[42:43]
	v_cmp_le_u64_e64 s0, s[0:1], v[42:43]
	s_and_saveexec_b32 s1, s0
	s_xor_b32 s0, exec_lo, s1
; %bb.10:
	v_mul_u32_u24_e32 v1, 0x96, v1
                                        ; implicit-def: $vgpr4_vgpr5
	v_sub_nc_u32_e32 v72, v0, v1
                                        ; implicit-def: $vgpr1
                                        ; implicit-def: $vgpr0
; %bb.11:
	s_or_saveexec_b32 s1, s0
                                        ; implicit-def: $vgpr2_vgpr3
                                        ; implicit-def: $vgpr10_vgpr11
                                        ; implicit-def: $vgpr14_vgpr15
                                        ; implicit-def: $vgpr18_vgpr19
                                        ; implicit-def: $vgpr22_vgpr23
                                        ; implicit-def: $vgpr6_vgpr7
                                        ; implicit-def: $vgpr26_vgpr27
                                        ; implicit-def: $vgpr34_vgpr35
                                        ; implicit-def: $vgpr38_vgpr39
                                        ; implicit-def: $vgpr30_vgpr31
	s_xor_b32 exec_lo, exec_lo, s1
	s_cbranch_execz .LBB0_13
; %bb.12:
	s_add_u32 s4, s16, s4
	s_addc_u32 s5, s17, s5
	s_load_dwordx2 s[4:5], s[4:5], 0x0
	s_waitcnt lgkmcnt(0)
	v_mul_lo_u32 v6, s5, v42
	v_mul_lo_u32 v7, s4, v43
	v_mad_u64_u32 v[2:3], null, s4, v42, 0
	v_add3_u32 v3, v3, v7, v6
	v_mul_u32_u24_e32 v6, 0x96, v1
	v_lshlrev_b64 v[1:2], 4, v[2:3]
	v_lshlrev_b64 v[3:4], 4, v[4:5]
	v_sub_nc_u32_e32 v72, v0, v6
	v_add_co_u32 v0, s0, s12, v1
	v_add_co_ci_u32_e64 v1, s0, s13, v2, s0
	v_lshlrev_b32_e32 v2, 4, v72
	v_add_co_u32 v0, s0, v0, v3
	v_add_co_ci_u32_e64 v1, s0, v1, v4, s0
	v_add_co_u32 v0, s0, v0, v2
	v_add_co_ci_u32_e64 v1, s0, 0, v1, s0
	;; [unrolled: 2-line block ×10, first 2 shown]
	s_clause 0x3
	global_load_dwordx4 v[28:31], v[0:1], off
	global_load_dwordx4 v[36:39], v[2:3], off offset:704
	global_load_dwordx4 v[32:35], v[4:5], off offset:1408
	;; [unrolled: 1-line block ×3, first 2 shown]
	v_add_co_u32 v0, s0, 0x5000, v0
	v_add_co_ci_u32_e64 v1, s0, 0, v1, s0
	s_clause 0x5
	global_load_dwordx4 v[4:7], v[8:9], off offset:768
	global_load_dwordx4 v[20:23], v[10:11], off offset:352
	global_load_dwordx4 v[16:19], v[12:13], off offset:1056
	global_load_dwordx4 v[12:15], v[14:15], off offset:1760
	global_load_dwordx4 v[8:11], v[44:45], off offset:416
	global_load_dwordx4 v[0:3], v[0:1], off offset:1120
.LBB0_13:
	s_or_b32 exec_lo, exec_lo, s1
	s_waitcnt vmcnt(8)
	v_add_f64 v[46:47], v[38:39], v[30:31]
	v_add_f64 v[44:45], v[36:37], v[28:29]
	s_waitcnt vmcnt(6)
	v_add_f64 v[48:49], v[24:25], v[32:33]
	s_waitcnt vmcnt(5)
	v_add_f64 v[50:51], v[4:5], v[36:37]
	v_add_f64 v[52:53], v[26:27], v[34:35]
	v_add_f64 v[54:55], v[6:7], v[38:39]
	v_add_f64 v[56:57], v[38:39], -v[6:7]
	v_add_f64 v[58:59], v[36:37], -v[32:33]
	;; [unrolled: 1-line block ×9, first 2 shown]
	s_waitcnt vmcnt(0)
	v_add_f64 v[77:78], v[0:1], v[16:17]
	v_add_f64 v[81:82], v[8:9], v[12:13]
	v_add_f64 v[73:74], v[26:27], -v[6:7]
	v_add_f64 v[75:76], v[16:17], -v[12:13]
	;; [unrolled: 1-line block ×3, first 2 shown]
	v_add_f64 v[85:86], v[10:11], v[14:15]
	v_add_f64 v[87:88], v[2:3], v[18:19]
	;; [unrolled: 1-line block ×4, first 2 shown]
	v_fma_f64 v[48:49], v[48:49], -0.5, v[28:29]
	v_fma_f64 v[28:29], v[50:51], -0.5, v[28:29]
	v_add_f64 v[89:90], v[16:17], v[20:21]
	v_fma_f64 v[52:53], v[52:53], -0.5, v[30:31]
	v_fma_f64 v[30:31], v[54:55], -0.5, v[30:31]
	v_add_f64 v[50:51], v[14:15], -v[10:11]
	s_mov_b32 s4, 0x134454ff
	s_mov_b32 s5, 0xbfee6f0e
	;; [unrolled: 1-line block ×4, first 2 shown]
	v_add_f64 v[54:55], v[66:67], v[58:59]
	v_add_f64 v[58:59], v[68:69], v[60:61]
	;; [unrolled: 1-line block ×3, first 2 shown]
	v_fma_f64 v[62:63], v[77:78], -0.5, v[20:21]
	v_fma_f64 v[20:21], v[81:82], -0.5, v[20:21]
	v_add_f64 v[36:37], v[36:37], -v[4:5]
	v_add_f64 v[32:33], v[32:33], -v[24:25]
	;; [unrolled: 1-line block ×4, first 2 shown]
	v_add_f64 v[38:39], v[73:74], v[38:39]
	v_add_f64 v[26:27], v[26:27], v[34:35]
	v_add_f64 v[34:35], v[18:19], -v[2:3]
	v_add_f64 v[24:25], v[24:25], v[44:45]
	v_fma_f64 v[44:45], v[56:57], s[4:5], v[48:49]
	v_add_f64 v[66:67], v[79:80], v[75:76]
	v_fma_f64 v[68:69], v[64:65], s[6:7], v[28:29]
	v_fma_f64 v[28:29], v[64:65], s[4:5], v[28:29]
	v_fma_f64 v[70:71], v[85:86], -0.5, v[22:23]
	v_add_f64 v[73:74], v[18:19], v[22:23]
	v_fma_f64 v[22:23], v[87:88], -0.5, v[22:23]
	v_add_f64 v[75:76], v[12:13], -v[8:9]
	v_fma_f64 v[48:49], v[56:57], s[6:7], v[48:49]
	v_add_f64 v[12:13], v[12:13], v[89:90]
	v_add_f64 v[16:17], v[16:17], -v[0:1]
	s_mov_b32 s12, 0x4755a5e
	v_fma_f64 v[77:78], v[50:51], s[6:7], v[62:63]
	v_fma_f64 v[62:63], v[50:51], s[4:5], v[62:63]
	s_mov_b32 s13, 0xbfe2cf23
	s_mov_b32 s11, 0x3fe2cf23
	;; [unrolled: 1-line block ×3, first 2 shown]
	v_add_f64 v[46:47], v[83:84], v[46:47]
	v_fma_f64 v[79:80], v[36:37], s[6:7], v[52:53]
	v_fma_f64 v[52:53], v[36:37], s[4:5], v[52:53]
	;; [unrolled: 1-line block ×9, first 2 shown]
	v_add_f64 v[85:86], v[18:19], -v[14:15]
	v_add_f64 v[18:19], v[14:15], -v[18:19]
	v_fma_f64 v[91:92], v[75:76], s[4:5], v[22:23]
	v_fma_f64 v[22:23], v[75:76], s[6:7], v[22:23]
	;; [unrolled: 1-line block ×3, first 2 shown]
	v_add_f64 v[8:9], v[8:9], v[12:13]
	v_add_f64 v[87:88], v[2:3], -v[10:11]
	v_fma_f64 v[56:57], v[34:35], s[12:13], v[77:78]
	v_fma_f64 v[34:35], v[34:35], s[10:11], v[62:63]
	v_add_f64 v[14:15], v[14:15], v[73:74]
	v_fma_f64 v[73:74], v[16:17], s[6:7], v[70:71]
	v_add_f64 v[89:90], v[10:11], -v[2:3]
	v_fma_f64 v[70:71], v[16:17], s[4:5], v[70:71]
	s_mov_b32 s16, 0x372fe950
	s_mov_b32 s17, 0x3fd3c6ef
	v_fma_f64 v[12:13], v[50:51], s[12:13], v[81:82]
	v_fma_f64 v[20:21], v[50:51], s[10:11], v[20:21]
	;; [unrolled: 1-line block ×7, first 2 shown]
	v_add_f64 v[4:5], v[4:5], v[24:25]
	v_fma_f64 v[44:45], v[58:59], s[16:17], v[68:69]
	v_fma_f64 v[68:69], v[16:17], s[10:11], v[91:92]
	;; [unrolled: 1-line block ×5, first 2 shown]
	v_add_f64 v[0:1], v[0:1], v[8:9]
	v_fma_f64 v[28:29], v[46:47], s[16:17], v[56:57]
	v_fma_f64 v[46:47], v[46:47], s[16:17], v[34:35]
	v_add_f64 v[50:51], v[87:88], v[85:86]
	v_add_f64 v[10:11], v[10:11], v[14:15]
	v_fma_f64 v[14:15], v[75:76], s[10:11], v[73:74]
	v_add_f64 v[18:19], v[89:90], v[18:19]
	v_fma_f64 v[64:65], v[75:76], s[12:13], v[70:71]
	v_mad_u32_u24 v34, v72, 40, 0
	v_fma_f64 v[12:13], v[66:67], s[16:17], v[12:13]
	v_fma_f64 v[20:21], v[66:67], s[16:17], v[20:21]
	v_add_f64 v[48:49], v[6:7], v[26:27]
	v_and_b32_e32 v9, 0xff, v72
	v_add_nc_u32_e32 v7, 0x1770, v34
	s_load_dwordx2 s[2:3], s[2:3], 0x0
	ds_write2_b64 v34, v[4:5], v[36:37] offset1:1
	ds_write2_b64 v34, v[44:45], v[22:23] offset0:2 offset1:3
	v_add_nc_u32_e32 v36, 0x1780, v34
	ds_write_b64 v34, v[24:25] offset:32
	v_fma_f64 v[54:55], v[60:61], s[16:17], v[62:63]
	v_fma_f64 v[52:53], v[38:39], s[16:17], v[52:53]
	;; [unrolled: 1-line block ×4, first 2 shown]
	v_add_f64 v[38:39], v[2:3], v[10:11]
	v_fma_f64 v[56:57], v[50:51], s[16:17], v[14:15]
	v_fma_f64 v[58:59], v[18:19], s[16:17], v[68:69]
	;; [unrolled: 1-line block ×3, first 2 shown]
	ds_write2_b64 v7, v[0:1], v[12:13] offset1:1
	ds_write2_b64 v36, v[28:29], v[46:47] offset1:1
	ds_write_b64 v34, v[20:21] offset:6032
	v_mul_lo_u16 v1, 0xcd, v9
	v_fma_f64 v[50:51], v[50:51], s[16:17], v[64:65]
	v_lshlrev_b32_e32 v35, 5, v72
	v_mov_b32_e32 v6, 9
	s_waitcnt lgkmcnt(0)
	v_lshrrev_b16 v4, 10, v1
	s_barrier
	v_sub_nc_u32_e32 v0, v34, v35
	buffer_gl0_inv
	s_mov_b32 s18, 0x9b97f4a8
	v_mul_lo_u16 v5, v4, 5
	s_mov_b32 s19, 0x3fe9e377
	v_add_nc_u32_e32 v1, 0x800, v0
	v_add_nc_u32_e32 v3, 0x1000, v0
	;; [unrolled: 1-line block ×3, first 2 shown]
	v_sub_nc_u16 v5, v72, v5
	v_add_nc_u32_e32 v2, 0x2400, v0
	ds_read2_b64 v[10:13], v0 offset1:150
	ds_read2_b64 v[14:17], v1 offset0:44 offset1:194
	ds_read2_b64 v[18:21], v3 offset0:88 offset1:238
	;; [unrolled: 1-line block ×4, first 2 shown]
	s_waitcnt lgkmcnt(0)
	v_mul_u32_u24_sdwa v37, v5, v6 dst_sel:DWORD dst_unused:UNUSED_PAD src0_sel:BYTE_0 src1_sel:DWORD
	s_barrier
	buffer_gl0_inv
	ds_write2_b64 v34, v[48:49], v[54:55] offset1:1
	ds_write2_b64 v34, v[52:53], v[30:31] offset0:2 offset1:3
	ds_write_b64 v34, v[32:33] offset:32
	ds_write2_b64 v7, v[38:39], v[56:57] offset1:1
	ds_write2_b64 v36, v[58:59], v[60:61] offset1:1
	v_lshlrev_b32_e32 v7, 4, v37
	ds_write_b64 v34, v[50:51] offset:6032
	s_waitcnt lgkmcnt(0)
	s_barrier
	buffer_gl0_inv
	s_clause 0x8
	global_load_dwordx4 v[30:33], v7, s[8:9] offset:16
	global_load_dwordx4 v[36:39], v7, s[8:9] offset:48
	;; [unrolled: 1-line block ×8, first 2 shown]
	global_load_dwordx4 v[68:71], v7, s[8:9]
	ds_read2_b64 v[73:76], v1 offset0:44 offset1:194
	ds_read2_b64 v[77:80], v3 offset0:88 offset1:238
	;; [unrolled: 1-line block ×4, first 2 shown]
	s_mov_b32 s1, 0xbfd3c6ef
	s_mov_b32 s0, s16
	;; [unrolled: 1-line block ×4, first 2 shown]
	v_mov_b32_e32 v97, 0x190
	v_mov_b32_e32 v7, 3
	v_mul_lo_u16 v9, v9, 41
	v_sub_nc_u32_e32 v35, 0, v35
	v_lshrrev_b16 v9, 11, v9
	s_waitcnt vmcnt(8) lgkmcnt(3)
	v_mul_f64 v[89:90], v[73:74], v[32:33]
	v_mul_f64 v[32:33], v[14:15], v[32:33]
	s_waitcnt vmcnt(7) lgkmcnt(2)
	v_mul_f64 v[91:92], v[77:78], v[38:39]
	v_mul_f64 v[38:39], v[18:19], v[38:39]
	v_fma_f64 v[14:15], v[14:15], v[30:31], v[89:90]
	v_fma_f64 v[73:74], v[73:74], v[30:31], -v[32:33]
	s_waitcnt vmcnt(6) lgkmcnt(1)
	v_mul_f64 v[30:31], v[81:82], v[46:47]
	v_mul_f64 v[32:33], v[22:23], v[46:47]
	v_fma_f64 v[18:19], v[18:19], v[36:37], v[91:92]
	v_fma_f64 v[36:37], v[77:78], v[36:37], -v[38:39]
	s_waitcnt vmcnt(5)
	v_mul_f64 v[38:39], v[16:17], v[50:51]
	s_waitcnt vmcnt(4)
	v_mul_f64 v[46:47], v[20:21], v[54:55]
	v_mul_f64 v[50:51], v[75:76], v[50:51]
	;; [unrolled: 1-line block ×3, first 2 shown]
	s_waitcnt vmcnt(0)
	v_mul_f64 v[77:78], v[12:13], v[70:71]
	v_fma_f64 v[22:23], v[22:23], v[44:45], v[30:31]
	v_fma_f64 v[44:45], v[81:82], v[44:45], -v[32:33]
	s_waitcnt lgkmcnt(0)
	v_mul_f64 v[30:31], v[85:86], v[58:59]
	v_mul_f64 v[32:33], v[26:27], v[58:59]
	v_fma_f64 v[38:39], v[75:76], v[48:49], -v[38:39]
	v_mul_f64 v[58:59], v[24:25], v[62:63]
	v_mul_f64 v[75:76], v[28:29], v[66:67]
	v_fma_f64 v[46:47], v[79:80], v[52:53], -v[46:47]
	v_mul_f64 v[62:63], v[83:84], v[62:63]
	v_mul_f64 v[66:67], v[87:88], v[66:67]
	v_fma_f64 v[16:17], v[16:17], v[48:49], v[50:51]
	v_fma_f64 v[20:21], v[20:21], v[52:53], v[54:55]
	v_add_f64 v[50:51], v[18:19], v[22:23]
	v_add_f64 v[54:55], v[36:37], v[44:45]
	v_fma_f64 v[26:27], v[26:27], v[56:57], v[30:31]
	v_fma_f64 v[56:57], v[85:86], v[56:57], -v[32:33]
	ds_read2_b64 v[30:33], v0 offset1:150
	v_fma_f64 v[58:59], v[83:84], v[60:61], -v[58:59]
	v_fma_f64 v[75:76], v[87:88], v[64:65], -v[75:76]
	s_waitcnt lgkmcnt(0)
	v_fma_f64 v[24:25], v[24:25], v[60:61], v[62:63]
	v_fma_f64 v[28:29], v[28:29], v[64:65], v[66:67]
	v_add_f64 v[64:65], v[14:15], -v[18:19]
	v_add_f64 v[91:92], v[20:21], -v[16:17]
	s_barrier
	buffer_gl0_inv
	v_fma_f64 v[50:51], v[50:51], -0.5, v[10:11]
	v_mul_f64 v[70:71], v[32:33], v[70:71]
	v_fma_f64 v[32:33], v[32:33], v[68:69], -v[77:78]
	v_add_f64 v[52:53], v[14:15], v[26:27]
	v_add_f64 v[60:61], v[46:47], v[58:59]
	;; [unrolled: 1-line block ×4, first 2 shown]
	v_add_f64 v[66:67], v[26:27], -v[22:23]
	v_add_f64 v[77:78], v[18:19], -v[14:15]
	;; [unrolled: 1-line block ×4, first 2 shown]
	v_add_f64 v[83:84], v[20:21], v[24:25]
	v_add_f64 v[85:86], v[16:17], v[28:29]
	v_add_f64 v[87:88], v[20:21], -v[24:25]
	v_add_f64 v[93:94], v[16:17], -v[28:29]
	v_add_f64 v[89:90], v[30:31], v[73:74]
	v_fma_f64 v[54:55], v[54:55], -0.5, v[30:31]
	v_add_f64 v[95:96], v[75:76], -v[58:59]
	v_fma_f64 v[12:13], v[12:13], v[68:69], v[70:71]
	v_add_f64 v[68:69], v[10:11], v[14:15]
	v_add_f64 v[70:71], v[16:17], -v[20:21]
	v_fma_f64 v[10:11], v[52:53], -0.5, v[10:11]
	v_fma_f64 v[48:49], v[48:49], -0.5, v[32:33]
	v_add_f64 v[52:53], v[24:25], -v[28:29]
	v_fma_f64 v[60:61], v[60:61], -0.5, v[32:33]
	v_fma_f64 v[30:31], v[62:63], -0.5, v[30:31]
	v_add_f64 v[62:63], v[38:39], -v[46:47]
	v_add_f64 v[64:65], v[64:65], v[66:67]
	v_add_f64 v[66:67], v[46:47], -v[38:39]
	v_add_f64 v[77:78], v[77:78], v[79:80]
	;; [unrolled: 2-line block ×5, first 2 shown]
	v_add_f64 v[68:69], v[68:69], v[18:19]
	v_add_f64 v[70:71], v[70:71], v[81:82]
	v_fma_f64 v[81:82], v[83:84], -0.5, v[12:13]
	v_fma_f64 v[12:13], v[85:86], -0.5, v[12:13]
	v_fma_f64 v[83:84], v[87:88], s[4:5], v[48:49]
	v_fma_f64 v[48:49], v[87:88], s[6:7], v[48:49]
	v_add_f64 v[85:86], v[46:47], -v[58:59]
	v_add_f64 v[52:53], v[91:92], v[52:53]
	v_fma_f64 v[91:92], v[93:94], s[6:7], v[60:61]
	v_fma_f64 v[60:61], v[93:94], s[4:5], v[60:61]
	v_add_f64 v[62:63], v[62:63], v[95:96]
	v_add_f64 v[95:96], v[73:74], -v[36:37]
	v_add_f64 v[66:67], v[66:67], v[79:80]
	v_add_f64 v[79:80], v[36:37], -v[73:74]
	v_add_f64 v[73:74], v[73:74], -v[56:57]
	;; [unrolled: 1-line block ×4, first 2 shown]
	v_add_f64 v[32:33], v[32:33], v[46:47]
	v_fma_f64 v[46:47], v[14:15], s[4:5], v[54:55]
	v_add_f64 v[16:17], v[16:17], v[20:21]
	v_add_f64 v[22:23], v[68:69], v[22:23]
	v_fma_f64 v[20:21], v[38:39], s[4:5], v[81:82]
	v_fma_f64 v[81:82], v[38:39], s[6:7], v[81:82]
	;; [unrolled: 1-line block ×8, first 2 shown]
	v_add_f64 v[32:33], v[32:33], v[58:59]
	v_add_f64 v[16:17], v[16:17], v[24:25]
	v_fma_f64 v[24:25], v[14:15], s[6:7], v[54:55]
	v_fma_f64 v[54:55], v[18:19], s[4:5], v[30:31]
	;; [unrolled: 1-line block ×13, first 2 shown]
	v_add_f64 v[66:67], v[56:57], -v[44:45]
	v_fma_f64 v[30:31], v[18:19], s[6:7], v[30:31]
	v_fma_f64 v[60:61], v[62:63], s[16:17], v[60:61]
	v_add_f64 v[62:63], v[44:45], -v[56:57]
	v_add_f64 v[44:45], v[89:90], v[44:45]
	v_add_f64 v[22:23], v[22:23], v[26:27]
	;; [unrolled: 1-line block ×3, first 2 shown]
	v_mul_lo_u16 v10, v9, 50
	v_fma_f64 v[24:25], v[18:19], s[10:11], v[24:25]
	v_fma_f64 v[18:19], v[18:19], s[12:13], v[46:47]
	;; [unrolled: 1-line block ×11, first 2 shown]
	v_mul_f64 v[52:53], v[91:92], s[12:13]
	v_mul_f64 v[85:86], v[83:84], s[4:5]
	v_add_f64 v[66:67], v[95:96], v[66:67]
	v_fma_f64 v[13:14], v[14:15], s[12:13], v[30:31]
	v_mul_f64 v[30:31], v[91:92], s[18:19]
	v_mul_f64 v[87:88], v[48:49], s[4:5]
	v_add_f64 v[62:63], v[79:80], v[62:63]
	v_mul_f64 v[46:47], v[83:84], s[16:17]
	v_mul_f64 v[48:49], v[48:49], s[0:1]
	;; [unrolled: 1-line block ×4, first 2 shown]
	v_add_f64 v[15:16], v[16:17], v[28:29]
	v_sub_nc_u16 v10, v72, v10
	v_fma_f64 v[28:29], v[64:65], s[16:17], v[68:69]
	v_mul_u32_u24_sdwa v68, v4, v97 dst_sel:DWORD dst_unused:UNUSED_PAD src0_sel:WORD_0 src1_sel:DWORD
	v_lshlrev_b32_sdwa v69, v7, v5 dst_sel:DWORD dst_unused:UNUSED_PAD src0_sel:DWORD src1_sel:BYTE_0
	v_add_f64 v[4:5], v[44:45], v[56:57]
	v_fma_f64 v[38:39], v[77:78], s[16:17], v[38:39]
	v_fma_f64 v[50:51], v[77:78], s[16:17], v[50:51]
	;; [unrolled: 1-line block ×15, first 2 shown]
	v_add_f64 v[44:45], v[22:23], v[15:16]
	v_add_f64 v[15:16], v[22:23], -v[15:16]
	v_mul_u32_u24_sdwa v6, v10, v6 dst_sel:DWORD dst_unused:UNUSED_PAD src0_sel:BYTE_0 src1_sel:DWORD
	v_add3_u32 v66, 0, v68, v69
	v_add_f64 v[56:57], v[4:5], v[32:33]
	v_add_f64 v[4:5], v[4:5], -v[32:33]
	v_lshlrev_b32_e32 v6, 4, v6
	v_add_f64 v[21:22], v[28:29], v[52:53]
	v_add_f64 v[48:49], v[38:39], v[58:59]
	v_add_f64 v[38:39], v[38:39], -v[58:59]
	v_add_f64 v[28:29], v[28:29], -v[52:53]
	v_add_f64 v[32:33], v[24:25], v[19:20]
	v_add_f64 v[54:55], v[50:51], v[60:61]
	v_add_f64 v[50:51], v[50:51], -v[60:61]
	v_add_f64 v[23:24], v[24:25], -v[19:20]
	v_add_f64 v[58:59], v[26:27], v[30:31]
	v_add_f64 v[60:61], v[13:14], v[11:12]
	;; [unrolled: 1-line block ×4, first 2 shown]
	v_add_f64 v[25:26], v[26:27], -v[30:31]
	v_add_f64 v[36:37], v[36:37], -v[64:65]
	;; [unrolled: 1-line block ×4, first 2 shown]
	ds_write2_b64 v66, v[44:45], v[21:22] offset1:5
	ds_write2_b64 v66, v[48:49], v[54:55] offset0:10 offset1:15
	ds_write2_b64 v66, v[52:53], v[15:16] offset0:20 offset1:25
	;; [unrolled: 1-line block ×4, first 2 shown]
	s_waitcnt lgkmcnt(0)
	s_barrier
	buffer_gl0_inv
	ds_read2_b64 v[11:14], v0 offset1:150
	ds_read2_b64 v[15:18], v1 offset0:44 offset1:194
	ds_read2_b64 v[19:22], v3 offset0:88 offset1:238
	;; [unrolled: 1-line block ×4, first 2 shown]
	s_waitcnt lgkmcnt(0)
	s_barrier
	buffer_gl0_inv
	ds_write2_b64 v66, v[56:57], v[32:33] offset1:5
	ds_write2_b64 v66, v[58:59], v[60:61] offset0:10 offset1:15
	ds_write2_b64 v66, v[62:63], v[4:5] offset0:20 offset1:25
	;; [unrolled: 1-line block ×4, first 2 shown]
	s_waitcnt lgkmcnt(0)
	s_barrier
	buffer_gl0_inv
	s_clause 0x8
	global_load_dwordx4 v[50:53], v6, s[8:9] offset:736
	global_load_dwordx4 v[23:26], v6, s[8:9] offset:752
	global_load_dwordx4 v[54:57], v6, s[8:9] offset:768
	global_load_dwordx4 v[58:61], v6, s[8:9] offset:784
	global_load_dwordx4 v[62:65], v6, s[8:9] offset:816
	global_load_dwordx4 v[66:69], v6, s[8:9] offset:800
	global_load_dwordx4 v[73:76], v6, s[8:9] offset:848
	global_load_dwordx4 v[77:80], v6, s[8:9] offset:832
	global_load_dwordx4 v[81:84], v6, s[8:9] offset:720
	ds_read2_b64 v[85:88], v1 offset0:44 offset1:194
	ds_read2_b64 v[3:6], v3 offset0:88 offset1:238
	;; [unrolled: 1-line block ×4, first 2 shown]
	s_waitcnt vmcnt(8) lgkmcnt(3)
	v_mul_f64 v[27:28], v[85:86], v[52:53]
	s_waitcnt vmcnt(7)
	v_mul_f64 v[32:33], v[87:88], v[25:26]
	s_waitcnt vmcnt(6) lgkmcnt(2)
	v_mul_f64 v[44:45], v[3:4], v[56:57]
	s_waitcnt vmcnt(5)
	v_mul_f64 v[70:71], v[5:6], v[60:61]
	v_mul_f64 v[25:26], v[17:18], v[25:26]
	;; [unrolled: 1-line block ×5, first 2 shown]
	v_fma_f64 v[30:31], v[15:16], v[50:51], v[27:28]
	v_fma_f64 v[32:33], v[17:18], v[23:24], v[32:33]
	s_waitcnt vmcnt(4) lgkmcnt(1)
	v_mul_f64 v[15:16], v[91:92], v[64:65]
	v_mul_f64 v[17:18], v[38:39], v[64:65]
	v_fma_f64 v[28:29], v[19:20], v[54:55], v[44:45]
	v_fma_f64 v[64:65], v[21:22], v[58:59], v[70:71]
	s_waitcnt vmcnt(3)
	v_mul_f64 v[20:21], v[89:90], v[68:69]
	s_waitcnt vmcnt(2)
	v_mul_f64 v[44:45], v[48:49], v[75:76]
	v_fma_f64 v[26:27], v[87:88], v[23:24], -v[25:26]
	v_fma_f64 v[24:25], v[5:6], v[58:59], -v[60:61]
	s_waitcnt lgkmcnt(0)
	v_mul_f64 v[5:6], v[95:96], v[75:76]
	s_waitcnt vmcnt(1)
	v_mul_f64 v[60:61], v[93:94], v[79:80]
	v_fma_f64 v[52:53], v[85:86], v[50:51], -v[52:53]
	v_fma_f64 v[54:55], v[3:4], v[54:55], -v[56:57]
	v_add_f64 v[87:88], v[11:12], v[30:31]
	v_fma_f64 v[58:59], v[38:39], v[62:63], v[15:16]
	v_fma_f64 v[22:23], v[91:92], v[62:63], -v[17:18]
	s_waitcnt vmcnt(0)
	v_mul_f64 v[62:63], v[13:14], v[83:84]
	ds_read2_b64 v[16:19], v0 offset1:150
	v_fma_f64 v[38:39], v[36:37], v[66:67], v[20:21]
	v_fma_f64 v[20:21], v[95:96], v[73:74], -v[44:45]
	v_mul_f64 v[36:37], v[36:37], v[68:69]
	v_add_f64 v[70:71], v[32:33], -v[64:65]
	v_fma_f64 v[5:6], v[48:49], v[73:74], v[5:6]
	v_fma_f64 v[44:45], v[46:47], v[77:78], v[60:61]
	v_mul_f64 v[46:47], v[46:47], v[79:80]
	v_add_f64 v[75:76], v[26:27], -v[24:25]
	v_add_f64 v[95:96], v[28:29], -v[30:31]
	s_waitcnt lgkmcnt(0)
	s_barrier
	buffer_gl0_inv
	v_add_f64 v[87:88], v[87:88], v[28:29]
	v_add_f64 v[50:51], v[64:65], v[58:59]
	v_mul_f64 v[48:49], v[18:19], v[83:84]
	v_fma_f64 v[18:19], v[18:19], v[81:82], -v[62:63]
	v_add_f64 v[60:61], v[24:25], v[22:23]
	v_add_f64 v[83:84], v[24:25], -v[26:27]
	v_add_f64 v[62:63], v[26:27], v[20:21]
	v_add_f64 v[79:80], v[26:27], -v[20:21]
	v_add_f64 v[85:86], v[22:23], -v[20:21]
	v_add_f64 v[68:69], v[32:33], v[5:6]
	v_add_f64 v[2:3], v[32:33], -v[5:6]
	v_fma_f64 v[46:47], v[93:94], v[77:78], -v[46:47]
	v_add_f64 v[73:74], v[5:6], -v[58:59]
	v_add_f64 v[77:78], v[20:21], -v[22:23]
	;; [unrolled: 1-line block ×3, first 2 shown]
	v_fma_f64 v[13:14], v[13:14], v[81:82], v[48:49]
	v_fma_f64 v[48:49], v[89:90], v[66:67], -v[36:37]
	v_fma_f64 v[56:57], v[60:61], -0.5, v[18:19]
	v_add_f64 v[36:37], v[64:65], -v[58:59]
	v_fma_f64 v[60:61], v[62:63], -0.5, v[18:19]
	v_add_f64 v[62:63], v[28:29], v[38:39]
	v_add_f64 v[66:67], v[30:31], v[44:45]
	v_add_f64 v[81:82], v[24:25], -v[22:23]
	v_add_f64 v[93:94], v[52:53], -v[46:47]
	v_add_f64 v[73:74], v[70:71], v[73:74]
	v_add_f64 v[75:76], v[75:76], v[77:78]
	;; [unrolled: 1-line block ×3, first 2 shown]
	v_fma_f64 v[68:69], v[68:69], -0.5, v[13:14]
	v_fma_f64 v[50:51], v[50:51], -0.5, v[13:14]
	v_fma_f64 v[89:90], v[2:3], s[6:7], v[56:57]
	v_fma_f64 v[56:57], v[2:3], s[4:5], v[56:57]
	;; [unrolled: 1-line block ×4, first 2 shown]
	v_add_f64 v[13:14], v[13:14], v[32:33]
	v_fma_f64 v[62:63], v[62:63], -0.5, v[11:12]
	v_fma_f64 v[11:12], v[66:67], -0.5, v[11:12]
	v_add_f64 v[32:33], v[64:65], -v[32:33]
	v_add_f64 v[66:67], v[58:59], -v[5:6]
	;; [unrolled: 1-line block ×3, first 2 shown]
	v_fma_f64 v[70:71], v[81:82], s[6:7], v[68:69]
	v_fma_f64 v[68:69], v[81:82], s[4:5], v[68:69]
	;; [unrolled: 1-line block ×8, first 2 shown]
	v_add_f64 v[60:61], v[30:31], -v[28:29]
	v_add_f64 v[56:57], v[44:45], -v[38:39]
	v_add_f64 v[13:14], v[13:14], v[64:65]
	v_add_f64 v[32:33], v[32:33], v[66:67]
	v_fma_f64 v[101:102], v[93:94], s[4:5], v[62:63]
	v_fma_f64 v[62:63], v[93:94], s[6:7], v[62:63]
	v_fma_f64 v[99:100], v[79:80], s[12:13], v[70:71]
	v_fma_f64 v[79:80], v[79:80], s[10:11], v[68:69]
	v_fma_f64 v[83:84], v[81:82], s[12:13], v[83:84]
	v_fma_f64 v[70:71], v[75:76], s[16:17], v[89:90]
	v_fma_f64 v[50:51], v[81:82], s[10:11], v[50:51]
	v_fma_f64 v[81:82], v[85:86], s[6:7], v[11:12]
	v_fma_f64 v[11:12], v[85:86], s[4:5], v[11:12]
	v_fma_f64 v[68:69], v[77:78], s[16:17], v[91:92]
	v_fma_f64 v[66:67], v[77:78], s[16:17], v[2:3]
	v_fma_f64 v[64:65], v[75:76], s[16:17], v[36:37]
	v_add_f64 v[2:3], v[60:61], v[56:57]
	v_add_f64 v[75:76], v[87:88], v[38:39]
	;; [unrolled: 1-line block ×3, first 2 shown]
	v_fma_f64 v[77:78], v[85:86], s[12:13], v[101:102]
	v_fma_f64 v[85:86], v[85:86], s[10:11], v[62:63]
	v_add_f64 v[36:37], v[95:96], v[97:98]
	v_fma_f64 v[60:61], v[32:33], s[16:17], v[99:100]
	v_fma_f64 v[62:63], v[32:33], s[16:17], v[79:80]
	;; [unrolled: 1-line block ×3, first 2 shown]
	v_mul_f64 v[32:33], v[70:71], s[12:13]
	v_fma_f64 v[56:57], v[73:74], s[16:17], v[50:51]
	v_fma_f64 v[81:82], v[93:94], s[12:13], v[81:82]
	;; [unrolled: 1-line block ×3, first 2 shown]
	v_mul_f64 v[50:51], v[68:69], s[4:5]
	v_mul_f64 v[73:74], v[66:67], s[4:5]
	;; [unrolled: 1-line block ×3, first 2 shown]
	v_add_f64 v[75:76], v[75:76], v[44:45]
	v_add_f64 v[4:5], v[13:14], v[5:6]
	v_fma_f64 v[13:14], v[2:3], s[16:17], v[77:78]
	v_fma_f64 v[2:3], v[2:3], s[16:17], v[85:86]
	v_mov_b32_e32 v6, 0xfa0
	v_fma_f64 v[32:33], v[58:59], s[18:19], v[32:33]
	v_fma_f64 v[77:78], v[36:37], s[16:17], v[81:82]
	v_fma_f64 v[11:12], v[36:37], s[16:17], v[11:12]
	v_fma_f64 v[36:37], v[60:61], s[16:17], v[50:51]
	v_fma_f64 v[50:51], v[62:63], s[0:1], v[73:74]
	v_fma_f64 v[73:74], v[56:57], s[20:21], v[79:80]
	v_cmp_gt_u32_e64 s0, 50, v72
	v_add_f64 v[79:80], v[75:76], v[4:5]
	v_add_f64 v[4:5], v[75:76], -v[4:5]
	v_add_f64 v[81:82], v[13:14], v[32:33]
	v_add_f64 v[13:14], v[13:14], -v[32:33]
	v_add_f64 v[83:84], v[77:78], v[36:37]
	v_add_f64 v[85:86], v[11:12], v[50:51]
	;; [unrolled: 1-line block ×3, first 2 shown]
	v_add_f64 v[36:37], v[77:78], -v[36:37]
	v_add_f64 v[11:12], v[11:12], -v[50:51]
	;; [unrolled: 1-line block ×3, first 2 shown]
	v_mul_u32_u24_sdwa v2, v9, v6 dst_sel:DWORD dst_unused:UNUSED_PAD src0_sel:WORD_0 src1_sel:DWORD
	v_lshlrev_b32_sdwa v3, v7, v10 dst_sel:DWORD dst_unused:UNUSED_PAD src0_sel:DWORD src1_sel:BYTE_0
	v_add_nc_u32_e32 v9, 0x1400, v0
	v_add_nc_u32_e32 v74, v34, v35
                                        ; implicit-def: $vgpr34_vgpr35
	v_add3_u32 v73, 0, v2, v3
	v_add_nc_u32_e32 v75, 0x800, v73
	ds_write2_b64 v73, v[79:80], v[81:82] offset1:50
	ds_write2_b64 v73, v[83:84], v[85:86] offset0:100 offset1:150
	ds_write2_b64 v73, v[87:88], v[4:5] offset0:200 offset1:250
	;; [unrolled: 1-line block ×4, first 2 shown]
	s_waitcnt lgkmcnt(0)
	s_barrier
	buffer_gl0_inv
	ds_read_b64 v[50:51], v0 offset:10400
	ds_read2_b64 v[4:7], v0 offset1:150
	ds_read2_b64 v[0:3], v1 offset0:44 offset1:244
	ds_read2_b64 v[12:15], v8 offset0:104 offset1:254
	;; [unrolled: 1-line block ×3, first 2 shown]
                                        ; implicit-def: $vgpr36_vgpr37
	s_and_saveexec_b32 s1, s0
	s_cbranch_execz .LBB0_15
; %bb.14:
	ds_read_b64 v[32:33], v74 offset:3600
	ds_read_b64 v[36:37], v74 offset:7600
	;; [unrolled: 1-line block ×3, first 2 shown]
.LBB0_15:
	s_or_b32 exec_lo, exec_lo, s1
	v_add_f64 v[76:77], v[54:55], v[48:49]
	v_add_f64 v[78:79], v[52:53], v[46:47]
	v_add_f64 v[80:81], v[16:17], v[52:53]
	v_add_f64 v[30:31], v[30:31], -v[44:45]
	v_add_f64 v[18:19], v[18:19], v[26:27]
	v_add_f64 v[26:27], v[28:29], -v[38:39]
	v_add_f64 v[38:39], v[52:53], -v[54:55]
	;; [unrolled: 1-line block ×4, first 2 shown]
	v_mul_f64 v[70:71], v[70:71], s[18:19]
	v_mul_f64 v[68:69], v[68:69], s[16:17]
	;; [unrolled: 1-line block ×4, first 2 shown]
	s_waitcnt lgkmcnt(0)
	s_barrier
	buffer_gl0_inv
	v_fma_f64 v[28:29], v[76:77], -0.5, v[16:17]
	v_fma_f64 v[16:17], v[78:79], -0.5, v[16:17]
	v_add_f64 v[54:55], v[80:81], v[54:55]
	v_add_f64 v[18:19], v[18:19], v[24:25]
	v_add_f64 v[24:25], v[48:49], -v[46:47]
	v_add_f64 v[38:39], v[38:39], v[44:45]
	v_fma_f64 v[76:77], v[30:31], s[6:7], v[28:29]
	v_fma_f64 v[78:79], v[26:27], s[4:5], v[16:17]
	;; [unrolled: 1-line block ×4, first 2 shown]
	v_add_f64 v[44:45], v[54:55], v[48:49]
	v_add_f64 v[18:19], v[18:19], v[22:23]
	;; [unrolled: 1-line block ×3, first 2 shown]
	v_fma_f64 v[52:53], v[62:63], s[6:7], -v[66:67]
	v_fma_f64 v[24:25], v[26:27], s[10:11], v[76:77]
	v_fma_f64 v[48:49], v[30:31], s[10:11], v[78:79]
	;; [unrolled: 1-line block ×5, first 2 shown]
	v_add_f64 v[44:45], v[44:45], v[46:47]
	v_add_f64 v[18:19], v[18:19], v[20:21]
	v_fma_f64 v[30:31], v[60:61], s[6:7], v[68:69]
	v_fma_f64 v[20:21], v[56:57], s[10:11], -v[64:65]
	v_fma_f64 v[24:25], v[38:39], s[16:17], v[24:25]
	v_fma_f64 v[46:47], v[22:23], s[16:17], v[48:49]
	;; [unrolled: 1-line block ×4, first 2 shown]
	v_add_f64 v[26:27], v[44:45], v[18:19]
	v_add_f64 v[18:19], v[44:45], -v[18:19]
	v_add_f64 v[44:45], v[24:25], v[28:29]
	v_add_f64 v[48:49], v[46:47], v[30:31]
	;; [unrolled: 1-line block ×4, first 2 shown]
	v_add_f64 v[24:25], v[24:25], -v[28:29]
	v_add_f64 v[28:29], v[46:47], -v[30:31]
	;; [unrolled: 1-line block ×4, first 2 shown]
	v_add_nc_u32_e32 v20, 0x800, v74
	v_add_nc_u32_e32 v30, 0x1c00, v74
	;; [unrolled: 1-line block ×3, first 2 shown]
                                        ; implicit-def: $vgpr46_vgpr47
	ds_write2_b64 v73, v[26:27], v[44:45] offset1:50
	ds_write2_b64 v73, v[48:49], v[54:55] offset0:100 offset1:150
	ds_write2_b64 v73, v[56:57], v[18:19] offset0:200 offset1:250
	;; [unrolled: 1-line block ×4, first 2 shown]
	s_waitcnt lgkmcnt(0)
	s_barrier
	buffer_gl0_inv
	ds_read2_b64 v[16:19], v74 offset1:150
	ds_read2_b64 v[20:23], v20 offset0:44 offset1:244
	ds_read2_b64 v[24:27], v30 offset0:104 offset1:254
	;; [unrolled: 1-line block ×3, first 2 shown]
	ds_read_b64 v[52:53], v74 offset:10400
                                        ; implicit-def: $vgpr48_vgpr49
	s_and_saveexec_b32 s1, s0
	s_cbranch_execz .LBB0_17
; %bb.16:
	ds_read_b64 v[38:39], v74 offset:3600
	ds_read_b64 v[48:49], v74 offset:7600
	ds_read_b64 v[46:47], v74 offset:11600
.LBB0_17:
	s_or_b32 exec_lo, exec_lo, s1
	s_and_saveexec_b32 s1, vcc_lo
	s_cbranch_execz .LBB0_20
; %bb.18:
	v_lshlrev_b32_e32 v54, 1, v72
	v_mov_b32_e32 v45, 0
	v_mul_hi_u32 v81, 0x10624dd3, v72
	v_mul_lo_u32 v83, s2, v43
	v_add_nc_u32_e32 v96, 0x12c, v72
	v_add_nc_u32_e32 v44, 0x258, v54
	v_mov_b32_e32 v55, v45
	v_add_nc_u32_e32 v95, 0x96, v72
	s_mov_b32 s5, 0x3febb67a
	v_mul_hi_u32 v84, 0x10624dd3, v96
	v_lshlrev_b64 v[56:57], 4, v[44:45]
	v_add_nc_u32_e32 v44, 0x12c, v54
	v_lshlrev_b64 v[54:55], 4, v[54:55]
	v_lshrrev_b32_e32 v85, 5, v81
	v_mov_b32_e32 v81, v45
	v_mov_b32_e32 v82, v45
	v_lshlrev_b64 v[58:59], 4, v[44:45]
	v_lshrrev_b32_e32 v97, 5, v84
	v_add_co_u32 v44, vcc_lo, s8, v54
	v_add_co_ci_u32_e32 v60, vcc_lo, s9, v55, vcc_lo
	v_add_co_u32 v64, vcc_lo, s8, v56
	v_add_co_ci_u32_e32 v65, vcc_lo, s9, v57, vcc_lo
	v_add_co_u32 v54, vcc_lo, 0x1800, v44
	v_add_co_ci_u32_e32 v55, vcc_lo, 0, v60, vcc_lo
	v_add_co_u32 v62, vcc_lo, 0x1800, v64
	v_add_co_ci_u32_e32 v63, vcc_lo, 0, v65, vcc_lo
	v_add_co_u32 v68, vcc_lo, s8, v58
	v_add_co_ci_u32_e32 v69, vcc_lo, s9, v59, vcc_lo
	v_add_co_u32 v58, vcc_lo, 0x1ef0, v44
	v_add_co_ci_u32_e32 v59, vcc_lo, 0, v60, vcc_lo
	v_add_co_u32 v70, vcc_lo, 0x1800, v68
	v_add_co_ci_u32_e32 v71, vcc_lo, 0, v69, vcc_lo
	v_add_co_u32 v66, vcc_lo, 0x1ef0, v64
	v_add_co_ci_u32_e32 v67, vcc_lo, 0, v65, vcc_lo
	v_add_co_u32 v77, vcc_lo, 0x1ef0, v68
	s_clause 0x1
	global_load_dwordx4 v[54:57], v[54:55], off offset:1776
	global_load_dwordx4 v[58:61], v[58:59], off offset:16
	v_add_co_ci_u32_e32 v78, vcc_lo, 0, v69, vcc_lo
	s_clause 0x3
	global_load_dwordx4 v[62:65], v[62:63], off offset:1776
	global_load_dwordx4 v[66:69], v[66:67], off offset:16
	;; [unrolled: 1-line block ×4, first 2 shown]
	v_mul_lo_u32 v44, s3, v42
	v_mad_u64_u32 v[42:43], null, s2, v42, 0
	v_lshlrev_b64 v[70:71], 4, v[40:41]
	v_mul_hi_u32 v41, 0x10624dd3, v95
	v_mul_u32_u24_e32 v99, 0x1f4, v97
	s_mov_b32 s2, 0xe8584caa
	s_mov_b32 s3, 0xbfebb67a
	;; [unrolled: 1-line block ×3, first 2 shown]
	v_add3_u32 v43, v43, v83, v44
	v_mul_u32_u24_e32 v83, 0x1f4, v85
	v_sub_nc_u32_e32 v96, v96, v99
	v_lshrrev_b32_e32 v44, 5, v41
	v_add_nc_u32_e32 v40, 0x1c2, v72
	v_lshlrev_b64 v[41:42], 4, v[42:43]
	v_sub_nc_u32_e32 v98, v72, v83
	v_mul_u32_u24_e32 v43, 0x1f4, v44
	v_cmp_gt_u32_e32 vcc_lo, 0x1f4, v40
	v_add_co_u32 v41, s1, s14, v41
	v_sub_nc_u32_e32 v95, v95, v43
	v_add_co_ci_u32_e64 v100, s1, s15, v42, s1
	v_add_co_u32 v42, s1, v41, v70
	v_mad_u32_u24 v44, 0x5dc, v44, v95
	v_add_co_ci_u32_e64 v43, s1, v100, v71, s1
	v_lshlrev_b32_e32 v98, 4, v98
	s_waitcnt vmcnt(5)
	v_mul_f64 v[83:84], v[2:3], v[56:57]
	s_waitcnt lgkmcnt(3)
	v_mul_f64 v[56:57], v[22:23], v[56:57]
	s_waitcnt vmcnt(4)
	v_mul_f64 v[85:86], v[12:13], v[60:61]
	s_waitcnt lgkmcnt(2)
	v_mul_f64 v[60:61], v[24:25], v[60:61]
	s_waitcnt vmcnt(3)
	v_mul_f64 v[87:88], v[10:11], v[64:65]
	s_waitcnt vmcnt(2)
	;; [unrolled: 2-line block ×4, first 2 shown]
	v_mul_f64 v[93:94], v[14:15], v[79:80]
	s_waitcnt lgkmcnt(1)
	v_mul_f64 v[75:76], v[28:29], v[75:76]
	v_mul_f64 v[79:80], v[26:27], v[79:80]
	v_mul_f64 v[64:65], v[30:31], v[64:65]
	s_waitcnt lgkmcnt(0)
	v_mul_f64 v[68:69], v[52:53], v[68:69]
	v_fma_f64 v[22:23], v[22:23], v[54:55], -v[83:84]
	v_fma_f64 v[2:3], v[2:3], v[54:55], v[56:57]
	v_fma_f64 v[24:25], v[24:25], v[58:59], -v[85:86]
	v_fma_f64 v[12:13], v[12:13], v[58:59], v[60:61]
	v_fma_f64 v[30:31], v[30:31], v[62:63], -v[87:88]
	v_fma_f64 v[52:53], v[52:53], v[66:67], -v[89:90]
	;; [unrolled: 1-line block ×4, first 2 shown]
	v_fma_f64 v[8:9], v[8:9], v[73:74], v[75:76]
	v_fma_f64 v[14:15], v[14:15], v[77:78], v[79:80]
	;; [unrolled: 1-line block ×4, first 2 shown]
	v_add_nc_u32_e32 v80, 0x1f4, v44
	v_lshlrev_b64 v[56:57], 4, v[44:45]
	v_add_nc_u32_e32 v44, 0x3e8, v44
	v_add_co_u32 v54, s1, v42, v98
	v_lshlrev_b64 v[62:63], 4, v[80:81]
	v_add_co_ci_u32_e64 v55, s1, 0, v43, s1
	v_lshlrev_b64 v[64:65], 4, v[44:45]
	v_mad_u32_u24 v44, 0x5dc, v97, v96
	v_add_f64 v[89:90], v[16:17], v[22:23]
	v_add_f64 v[91:92], v[4:5], v[2:3]
	;; [unrolled: 1-line block ×6, first 2 shown]
	v_add_f64 v[87:88], v[2:3], -v[12:13]
	v_add_f64 v[73:74], v[28:29], v[26:27]
	v_add_f64 v[93:94], v[22:23], -v[24:25]
	v_add_f64 v[75:76], v[8:9], v[14:15]
	v_add_f64 v[22:23], v[18:19], v[28:29]
	;; [unrolled: 1-line block ×3, first 2 shown]
	v_add_f64 v[83:84], v[10:11], -v[50:51]
	v_add_f64 v[10:11], v[0:1], v[10:11]
	v_add_f64 v[95:96], v[6:7], v[8:9]
	v_add_f64 v[97:98], v[8:9], -v[14:15]
	v_add_f64 v[99:100], v[28:29], -v[26:27]
	v_add_co_u32 v58, s1, 0x1800, v54
	v_add_co_ci_u32_e64 v59, s1, 0, v55, s1
	v_add_co_u32 v60, s1, 0x3800, v54
	v_add_co_ci_u32_e64 v61, s1, 0, v55, s1
	v_fma_f64 v[16:17], v[68:69], -0.5, v[16:17]
	v_add_co_u32 v56, s1, v42, v56
	v_fma_f64 v[66:67], v[66:67], -0.5, v[20:21]
	v_fma_f64 v[20:21], v[70:71], -0.5, v[4:5]
	;; [unrolled: 1-line block ×4, first 2 shown]
	v_add_f64 v[70:71], v[30:31], -v[52:53]
	v_fma_f64 v[73:74], v[79:80], -0.5, v[0:1]
	v_add_f64 v[6:7], v[89:90], v[24:25]
	v_add_f64 v[4:5], v[91:92], v[12:13]
	;; [unrolled: 1-line block ×5, first 2 shown]
	v_add_nc_u32_e32 v81, 0x1f4, v44
	v_add_f64 v[2:3], v[85:86], v[52:53]
	v_add_co_ci_u32_e64 v57, s1, v43, v57, s1
	v_lshlrev_b64 v[77:78], 4, v[44:45]
	v_add_co_u32 v62, s1, v42, v62
	v_add_nc_u32_e32 v44, 0x3e8, v44
	v_fma_f64 v[18:19], v[87:88], s[2:3], v[16:17]
	v_fma_f64 v[22:23], v[87:88], s[4:5], v[16:17]
	v_add_co_ci_u32_e64 v63, s1, v43, v63, s1
	v_fma_f64 v[16:17], v[93:94], s[4:5], v[20:21]
	v_fma_f64 v[20:21], v[93:94], s[2:3], v[20:21]
	;; [unrolled: 1-line block ×10, first 2 shown]
	v_add_co_u32 v64, s1, v42, v64
	v_lshlrev_b64 v[75:76], 4, v[81:82]
	v_add_co_ci_u32_e64 v65, s1, v43, v65, s1
	v_lshlrev_b64 v[66:67], 4, v[44:45]
	v_add_co_u32 v68, s1, v42, v77
	v_add_co_ci_u32_e64 v69, s1, v43, v78, s1
	v_add_co_u32 v70, s1, v42, v75
	v_add_co_ci_u32_e64 v71, s1, v43, v76, s1
	;; [unrolled: 2-line block ×3, first 2 shown]
	global_store_dwordx4 v[54:55], v[4:7], off
	global_store_dwordx4 v[58:59], v[20:23], off offset:1856
	global_store_dwordx4 v[60:61], v[16:19], off offset:1664
	global_store_dwordx4 v[56:57], v[8:11], off
	global_store_dwordx4 v[62:63], v[28:31], off
	;; [unrolled: 1-line block ×6, first 2 shown]
	s_and_b32 exec_lo, exec_lo, vcc_lo
	s_cbranch_execz .LBB0_20
; %bb.19:
	v_mov_b32_e32 v0, 0x1c2
	v_mov_b32_e32 v41, v45
	v_cndmask_b32_e64 v0, 0xffffffce, v0, s0
	v_add_lshl_u32 v44, v72, v0, 1
	v_lshlrev_b64 v[0:1], 4, v[44:45]
	v_add_nc_u32_e32 v44, 0x3b6, v72
	v_add_co_u32 v2, vcc_lo, s8, v0
	v_add_co_ci_u32_e32 v3, vcc_lo, s9, v1, vcc_lo
	v_add_co_u32 v0, vcc_lo, 0x1800, v2
	v_add_co_ci_u32_e32 v1, vcc_lo, 0, v3, vcc_lo
	;; [unrolled: 2-line block ×3, first 2 shown]
	s_clause 0x1
	global_load_dwordx4 v[0:3], v[0:1], off offset:1776
	global_load_dwordx4 v[4:7], v[4:5], off offset:16
	s_waitcnt vmcnt(1)
	v_mul_f64 v[8:9], v[48:49], v[2:3]
	s_waitcnt vmcnt(0)
	v_mul_f64 v[10:11], v[46:47], v[6:7]
	v_mul_f64 v[2:3], v[36:37], v[2:3]
	;; [unrolled: 1-line block ×3, first 2 shown]
	v_fma_f64 v[8:9], v[36:37], v[0:1], v[8:9]
	v_fma_f64 v[10:11], v[34:35], v[4:5], v[10:11]
	v_fma_f64 v[0:1], v[48:49], v[0:1], -v[2:3]
	v_fma_f64 v[2:3], v[46:47], v[4:5], -v[6:7]
	v_add_f64 v[12:13], v[32:33], v[8:9]
	v_add_f64 v[4:5], v[8:9], v[10:11]
	;; [unrolled: 1-line block ×4, first 2 shown]
	v_add_f64 v[14:15], v[0:1], -v[2:3]
	v_add_f64 v[20:21], v[8:9], -v[10:11]
	v_add_f64 v[0:1], v[12:13], v[10:11]
	v_fma_f64 v[18:19], v[4:5], -0.5, v[32:33]
	v_add_f64 v[2:3], v[16:17], v[2:3]
	v_fma_f64 v[22:23], v[6:7], -0.5, v[38:39]
	v_lshlrev_b64 v[12:13], 4, v[40:41]
	v_add_co_u32 v12, vcc_lo, v42, v12
	v_add_co_ci_u32_e32 v13, vcc_lo, v43, v13, vcc_lo
	v_fma_f64 v[4:5], v[14:15], s[2:3], v[18:19]
	v_fma_f64 v[8:9], v[14:15], s[4:5], v[18:19]
	;; [unrolled: 1-line block ×4, first 2 shown]
	v_lshlrev_b64 v[14:15], 4, v[44:45]
	v_add_nc_u32_e32 v44, 0x5aa, v72
	v_lshlrev_b64 v[16:17], 4, v[44:45]
	v_add_co_u32 v14, vcc_lo, v42, v14
	v_add_co_ci_u32_e32 v15, vcc_lo, v43, v15, vcc_lo
	v_add_co_u32 v16, vcc_lo, v42, v16
	v_add_co_ci_u32_e32 v17, vcc_lo, v43, v17, vcc_lo
	global_store_dwordx4 v[12:13], v[0:3], off
	global_store_dwordx4 v[14:15], v[4:7], off
	;; [unrolled: 1-line block ×3, first 2 shown]
.LBB0_20:
	s_endpgm
	.section	.rodata,"a",@progbits
	.p2align	6, 0x0
	.amdhsa_kernel fft_rtc_back_len1500_factors_5_10_10_3_wgs_150_tpt_150_halfLds_dp_op_CI_CI_unitstride_sbrr_dirReg
		.amdhsa_group_segment_fixed_size 0
		.amdhsa_private_segment_fixed_size 0
		.amdhsa_kernarg_size 104
		.amdhsa_user_sgpr_count 6
		.amdhsa_user_sgpr_private_segment_buffer 1
		.amdhsa_user_sgpr_dispatch_ptr 0
		.amdhsa_user_sgpr_queue_ptr 0
		.amdhsa_user_sgpr_kernarg_segment_ptr 1
		.amdhsa_user_sgpr_dispatch_id 0
		.amdhsa_user_sgpr_flat_scratch_init 0
		.amdhsa_user_sgpr_private_segment_size 0
		.amdhsa_wavefront_size32 1
		.amdhsa_uses_dynamic_stack 0
		.amdhsa_system_sgpr_private_segment_wavefront_offset 0
		.amdhsa_system_sgpr_workgroup_id_x 1
		.amdhsa_system_sgpr_workgroup_id_y 0
		.amdhsa_system_sgpr_workgroup_id_z 0
		.amdhsa_system_sgpr_workgroup_info 0
		.amdhsa_system_vgpr_workitem_id 0
		.amdhsa_next_free_vgpr 103
		.amdhsa_next_free_sgpr 27
		.amdhsa_reserve_vcc 1
		.amdhsa_reserve_flat_scratch 0
		.amdhsa_float_round_mode_32 0
		.amdhsa_float_round_mode_16_64 0
		.amdhsa_float_denorm_mode_32 3
		.amdhsa_float_denorm_mode_16_64 3
		.amdhsa_dx10_clamp 1
		.amdhsa_ieee_mode 1
		.amdhsa_fp16_overflow 0
		.amdhsa_workgroup_processor_mode 1
		.amdhsa_memory_ordered 1
		.amdhsa_forward_progress 0
		.amdhsa_shared_vgpr_count 0
		.amdhsa_exception_fp_ieee_invalid_op 0
		.amdhsa_exception_fp_denorm_src 0
		.amdhsa_exception_fp_ieee_div_zero 0
		.amdhsa_exception_fp_ieee_overflow 0
		.amdhsa_exception_fp_ieee_underflow 0
		.amdhsa_exception_fp_ieee_inexact 0
		.amdhsa_exception_int_div_zero 0
	.end_amdhsa_kernel
	.text
.Lfunc_end0:
	.size	fft_rtc_back_len1500_factors_5_10_10_3_wgs_150_tpt_150_halfLds_dp_op_CI_CI_unitstride_sbrr_dirReg, .Lfunc_end0-fft_rtc_back_len1500_factors_5_10_10_3_wgs_150_tpt_150_halfLds_dp_op_CI_CI_unitstride_sbrr_dirReg
                                        ; -- End function
	.section	.AMDGPU.csdata,"",@progbits
; Kernel info:
; codeLenInByte = 8608
; NumSgprs: 29
; NumVgprs: 103
; ScratchSize: 0
; MemoryBound: 1
; FloatMode: 240
; IeeeMode: 1
; LDSByteSize: 0 bytes/workgroup (compile time only)
; SGPRBlocks: 3
; VGPRBlocks: 12
; NumSGPRsForWavesPerEU: 29
; NumVGPRsForWavesPerEU: 103
; Occupancy: 9
; WaveLimiterHint : 1
; COMPUTE_PGM_RSRC2:SCRATCH_EN: 0
; COMPUTE_PGM_RSRC2:USER_SGPR: 6
; COMPUTE_PGM_RSRC2:TRAP_HANDLER: 0
; COMPUTE_PGM_RSRC2:TGID_X_EN: 1
; COMPUTE_PGM_RSRC2:TGID_Y_EN: 0
; COMPUTE_PGM_RSRC2:TGID_Z_EN: 0
; COMPUTE_PGM_RSRC2:TIDIG_COMP_CNT: 0
	.text
	.p2alignl 6, 3214868480
	.fill 48, 4, 3214868480
	.type	__hip_cuid_9457bb519dff34cc,@object ; @__hip_cuid_9457bb519dff34cc
	.section	.bss,"aw",@nobits
	.globl	__hip_cuid_9457bb519dff34cc
__hip_cuid_9457bb519dff34cc:
	.byte	0                               ; 0x0
	.size	__hip_cuid_9457bb519dff34cc, 1

	.ident	"AMD clang version 19.0.0git (https://github.com/RadeonOpenCompute/llvm-project roc-6.4.0 25133 c7fe45cf4b819c5991fe208aaa96edf142730f1d)"
	.section	".note.GNU-stack","",@progbits
	.addrsig
	.addrsig_sym __hip_cuid_9457bb519dff34cc
	.amdgpu_metadata
---
amdhsa.kernels:
  - .args:
      - .actual_access:  read_only
        .address_space:  global
        .offset:         0
        .size:           8
        .value_kind:     global_buffer
      - .offset:         8
        .size:           8
        .value_kind:     by_value
      - .actual_access:  read_only
        .address_space:  global
        .offset:         16
        .size:           8
        .value_kind:     global_buffer
      - .actual_access:  read_only
        .address_space:  global
        .offset:         24
        .size:           8
        .value_kind:     global_buffer
      - .actual_access:  read_only
        .address_space:  global
        .offset:         32
        .size:           8
        .value_kind:     global_buffer
      - .offset:         40
        .size:           8
        .value_kind:     by_value
      - .actual_access:  read_only
        .address_space:  global
        .offset:         48
        .size:           8
        .value_kind:     global_buffer
      - .actual_access:  read_only
        .address_space:  global
        .offset:         56
        .size:           8
        .value_kind:     global_buffer
      - .offset:         64
        .size:           4
        .value_kind:     by_value
      - .actual_access:  read_only
        .address_space:  global
        .offset:         72
        .size:           8
        .value_kind:     global_buffer
      - .actual_access:  read_only
        .address_space:  global
        .offset:         80
        .size:           8
        .value_kind:     global_buffer
      - .actual_access:  read_only
        .address_space:  global
        .offset:         88
        .size:           8
        .value_kind:     global_buffer
      - .actual_access:  write_only
        .address_space:  global
        .offset:         96
        .size:           8
        .value_kind:     global_buffer
    .group_segment_fixed_size: 0
    .kernarg_segment_align: 8
    .kernarg_segment_size: 104
    .language:       OpenCL C
    .language_version:
      - 2
      - 0
    .max_flat_workgroup_size: 150
    .name:           fft_rtc_back_len1500_factors_5_10_10_3_wgs_150_tpt_150_halfLds_dp_op_CI_CI_unitstride_sbrr_dirReg
    .private_segment_fixed_size: 0
    .sgpr_count:     29
    .sgpr_spill_count: 0
    .symbol:         fft_rtc_back_len1500_factors_5_10_10_3_wgs_150_tpt_150_halfLds_dp_op_CI_CI_unitstride_sbrr_dirReg.kd
    .uniform_work_group_size: 1
    .uses_dynamic_stack: false
    .vgpr_count:     103
    .vgpr_spill_count: 0
    .wavefront_size: 32
    .workgroup_processor_mode: 1
amdhsa.target:   amdgcn-amd-amdhsa--gfx1030
amdhsa.version:
  - 1
  - 2
...

	.end_amdgpu_metadata
